;; amdgpu-corpus repo=ROCm/rocFFT kind=compiled arch=gfx950 opt=O3
	.text
	.amdgcn_target "amdgcn-amd-amdhsa--gfx950"
	.amdhsa_code_object_version 6
	.protected	fft_rtc_fwd_len216_factors_6_4_3_3_wgs_252_tpt_18_dim2_sp_ip_CI_sbcc_twdbase8_3step_dirReg ; -- Begin function fft_rtc_fwd_len216_factors_6_4_3_3_wgs_252_tpt_18_dim2_sp_ip_CI_sbcc_twdbase8_3step_dirReg
	.globl	fft_rtc_fwd_len216_factors_6_4_3_3_wgs_252_tpt_18_dim2_sp_ip_CI_sbcc_twdbase8_3step_dirReg
	.p2align	8
	.type	fft_rtc_fwd_len216_factors_6_4_3_3_wgs_252_tpt_18_dim2_sp_ip_CI_sbcc_twdbase8_3step_dirReg,@function
fft_rtc_fwd_len216_factors_6_4_3_3_wgs_252_tpt_18_dim2_sp_ip_CI_sbcc_twdbase8_3step_dirReg: ; @fft_rtc_fwd_len216_factors_6_4_3_3_wgs_252_tpt_18_dim2_sp_ip_CI_sbcc_twdbase8_3step_dirReg
; %bb.0:
	s_load_dwordx4 s[4:7], s[0:1], 0x10
	s_mov_b32 s3, 0
	s_mov_b64 s[16:17], -1
	s_waitcnt lgkmcnt(0)
	s_load_dwordx2 s[14:15], s[4:5], 0x8
	s_load_dwordx2 s[10:11], s[0:1], 0x50
	;; [unrolled: 1-line block ×3, first 2 shown]
	s_waitcnt lgkmcnt(0)
	s_add_u32 s4, s14, -1
	s_addc_u32 s5, s15, -1
	s_add_u32 s12, 0, 0x49240800
	s_addc_u32 s13, 0, 50
	s_add_i32 s13, s13, 0x12492460
	s_mul_hi_u32 s21, s12, -14
	s_sub_i32 s21, s21, s12
	s_mul_i32 s22, s13, -14
	s_mul_i32 s18, s12, -14
	s_add_i32 s21, s21, s22
	s_mul_hi_u32 s19, s13, s18
	s_mul_i32 s20, s13, s18
	s_mul_i32 s23, s12, s21
	s_mul_hi_u32 s18, s12, s18
	s_mul_hi_u32 s22, s12, s21
	s_add_u32 s18, s18, s23
	s_addc_u32 s22, 0, s22
	s_add_u32 s18, s18, s20
	s_mul_hi_u32 s23, s13, s21
	s_addc_u32 s18, s22, s19
	s_addc_u32 s19, s23, 0
	s_mul_i32 s20, s13, s21
	s_add_u32 s18, s18, s20
	v_mov_b32_e32 v1, s18
	s_addc_u32 s19, 0, s19
	v_add_co_u32_e32 v1, vcc, s12, v1
	s_cmp_lg_u64 vcc, 0
	s_addc_u32 s12, s13, s19
	v_readfirstlane_b32 s19, v1
	s_mul_i32 s18, s4, s12
	s_mul_hi_u32 s20, s4, s19
	s_mul_hi_u32 s13, s4, s12
	s_add_u32 s18, s20, s18
	s_addc_u32 s13, 0, s13
	s_mul_hi_u32 s21, s5, s19
	s_mul_i32 s19, s5, s19
	s_add_u32 s18, s18, s19
	s_mul_hi_u32 s20, s5, s12
	s_addc_u32 s13, s13, s21
	s_addc_u32 s18, s20, 0
	s_mul_i32 s12, s5, s12
	s_add_u32 s12, s13, s12
	s_addc_u32 s13, 0, s18
	s_add_u32 s18, s12, 1
	s_addc_u32 s19, s13, 0
	s_add_u32 s20, s12, 2
	s_mul_i32 s22, s13, 14
	s_mul_hi_u32 s23, s12, 14
	s_addc_u32 s21, s13, 0
	s_add_i32 s23, s23, s22
	s_mul_i32 s22, s12, 14
	v_mov_b32_e32 v1, s22
	v_sub_co_u32_e32 v1, vcc, s4, v1
	s_cmp_lg_u64 vcc, 0
	s_subb_u32 s4, s5, s23
	v_subrev_co_u32_e32 v2, vcc, 14, v1
	s_cmp_lg_u64 vcc, 0
	s_subb_u32 s5, s4, 0
	v_readfirstlane_b32 s22, v2
	s_cmp_gt_u32 s22, 13
	s_cselect_b32 s22, -1, 0
	s_cmp_eq_u32 s5, 0
	s_cselect_b32 s5, s22, -1
	s_cmp_lg_u32 s5, 0
	s_cselect_b32 s5, s20, s18
	s_cselect_b32 s18, s21, s19
	v_readfirstlane_b32 s19, v1
	s_cmp_gt_u32 s19, 13
	s_cselect_b32 s19, -1, 0
	s_cmp_eq_u32 s4, 0
	s_cselect_b32 s4, s19, -1
	s_cmp_lg_u32 s4, 0
	s_cselect_b32 s4, s5, s12
	s_cselect_b32 s13, s18, s13
	s_add_u32 s4, s4, 1
	s_addc_u32 s5, s13, 0
	v_mov_b64_e32 v[2:3], s[4:5]
	v_cmp_lt_u64_e32 vcc, s[2:3], v[2:3]
	s_mov_b64 s[18:19], 0
	s_cbranch_vccnz .LBB0_2
; %bb.1:
	v_cvt_f32_u32_e32 v1, s4
	s_sub_i32 s3, 0, s4
	v_rcp_iflag_f32_e32 v1, v1
	s_nop 0
	v_mul_f32_e32 v1, 0x4f7ffffe, v1
	v_cvt_u32_f32_e32 v1, v1
	s_nop 0
	v_readfirstlane_b32 s12, v1
	s_mul_i32 s3, s3, s12
	s_mul_hi_u32 s3, s12, s3
	s_add_i32 s12, s12, s3
	s_mul_hi_u32 s3, s2, s12
	s_mul_i32 s13, s3, s4
	s_sub_i32 s13, s2, s13
	s_add_i32 s12, s3, 1
	s_sub_i32 s18, s13, s4
	s_cmp_ge_u32 s13, s4
	s_cselect_b32 s3, s12, s3
	s_cselect_b32 s13, s18, s13
	s_add_i32 s12, s3, 1
	s_cmp_ge_u32 s13, s4
	s_cselect_b32 s18, s12, s3
.LBB0_2:
	s_mul_i32 s3, s18, s5
	s_mul_hi_u32 s5, s18, s4
	s_add_i32 s5, s5, s3
	s_mul_i32 s3, s18, s4
	s_sub_u32 s2, s2, s3
	s_subb_u32 s3, 0, s5
	s_load_dwordx4 s[4:7], s[6:7], 0x8
	s_mul_i32 s19, s3, 14
	s_mul_hi_u32 s3, s2, 14
	s_mul_i32 s21, s2, 14
	s_add_i32 s20, s3, s19
	s_waitcnt lgkmcnt(0)
	s_mul_i32 s22, s21, s5
	s_mul_hi_u32 s23, s21, s4
	s_mul_i32 s3, s20, s4
	s_add_i32 s22, s23, s22
	s_mul_i32 s7, s7, s18
	s_mul_hi_u32 s23, s6, s18
	v_mul_u32_u24_e32 v1, 0x124a, v0
	s_add_i32 s22, s22, s3
	s_mul_i32 s3, s21, s4
	s_add_i32 s23, s23, s7
	s_mul_i32 s6, s6, s18
	v_lshrrev_b32_e32 v43, 16, v1
	s_add_u32 s6, s6, s3
	v_mul_lo_u16_e32 v1, 14, v43
	s_load_dwordx2 s[12:13], s[0:1], 0x0
	s_addc_u32 s7, s23, s22
	v_sub_u16_e32 v14, v0, v1
	v_mov_b32_e32 v15, 0
	v_mad_u64_u32 v[16:17], s[2:3], s2, 14, v[14:15]
	s_add_u32 s18, s21, 14
	v_add_u32_e32 v17, s19, v17
	s_addc_u32 s19, s20, 0
	v_mov_b64_e32 v[2:3], s[14:15]
	v_cmp_gt_u64_e32 vcc, s[18:19], v[2:3]
	v_cmp_le_u64_e64 s[2:3], s[18:19], v[2:3]
	s_cbranch_vccz .LBB0_8
; %bb.3:
	v_cmp_le_u64_e32 vcc, s[14:15], v[16:17]
                                        ; implicit-def: $vgpr42
                                        ; implicit-def: $vgpr15
                                        ; implicit-def: $vgpr1
	s_and_saveexec_b64 s[16:17], vcc
	s_xor_b64 s[16:17], exec, s[16:17]
; %bb.4:
	v_add_u32_e32 v42, 18, v43
	v_add_u32_e32 v15, 54, v43
	;; [unrolled: 1-line block ×3, first 2 shown]
; %bb.5:
	s_or_saveexec_b64 s[16:17], s[16:17]
                                        ; implicit-def: $vgpr5
                                        ; implicit-def: $vgpr3
                                        ; implicit-def: $vgpr27
                                        ; implicit-def: $vgpr29
                                        ; implicit-def: $vgpr9
                                        ; implicit-def: $vgpr7
                                        ; implicit-def: $vgpr11
                                        ; implicit-def: $vgpr13
                                        ; implicit-def: $vgpr19
                                        ; implicit-def: $vgpr25
                                        ; implicit-def: $vgpr23
                                        ; implicit-def: $vgpr21
	s_xor_b64 exec, exec, s[16:17]
	s_cbranch_execz .LBB0_7
; %bb.6:
	v_mad_u64_u32 v[2:3], s[18:19], s4, v14, 0
	v_mov_b32_e32 v4, v3
	v_mad_u64_u32 v[4:5], s[18:19], s5, v14, v[4:5]
	v_mov_b32_e32 v3, v4
	;; [unrolled: 2-line block ×3, first 2 shown]
	v_mad_u64_u32 v[6:7], s[18:19], s9, v43, v[6:7]
	s_lshl_b64 s[18:19], s[6:7], 3
	s_add_u32 s18, s10, s18
	s_addc_u32 s19, s11, s19
	v_add_u32_e32 v1, 36, v43
	v_mov_b32_e32 v5, v6
	v_lshl_add_u64 v[10:11], v[2:3], 3, s[18:19]
	v_mad_u64_u32 v[2:3], s[18:19], s8, v1, 0
	v_lshl_add_u64 v[12:13], v[4:5], 3, v[10:11]
	v_mov_b32_e32 v4, v3
	v_mad_u64_u32 v[4:5], s[18:19], s9, v1, v[4:5]
	v_mov_b32_e32 v3, v4
	v_add_u32_e32 v5, 0x48, v43
	v_lshl_add_u64 v[18:19], v[2:3], 3, v[10:11]
	v_mad_u64_u32 v[2:3], s[18:19], s8, v5, 0
	v_mov_b32_e32 v4, v3
	v_mad_u64_u32 v[4:5], s[18:19], s9, v5, v[4:5]
	v_mov_b32_e32 v3, v4
	v_add_u32_e32 v5, 0x6c, v43
	v_lshl_add_u64 v[20:21], v[2:3], 3, v[10:11]
	v_mad_u64_u32 v[2:3], s[18:19], s8, v5, 0
	;; [unrolled: 6-line block ×4, first 2 shown]
	v_mov_b32_e32 v4, v3
	v_mad_u64_u32 v[4:5], s[18:19], s9, v5, v[4:5]
	v_mov_b32_e32 v3, v4
	v_add_u32_e32 v42, 18, v43
	v_lshl_add_u64 v[32:33], v[2:3], 3, v[10:11]
	global_load_dwordx2 v[6:7], v[12:13], off
	global_load_dwordx2 v[2:3], v[18:19], off
	;; [unrolled: 1-line block ×4, first 2 shown]
	v_mad_u64_u32 v[12:13], s[18:19], s8, v42, 0
	v_mov_b32_e32 v18, v13
	v_mad_u64_u32 v[18:19], s[18:19], s9, v42, v[18:19]
	v_mov_b32_e32 v13, v18
	v_add_u32_e32 v15, 54, v43
	v_lshl_add_u64 v[34:35], v[12:13], 3, v[10:11]
	v_mad_u64_u32 v[12:13], s[18:19], s8, v15, 0
	v_mov_b32_e32 v18, v13
	v_mad_u64_u32 v[18:19], s[18:19], s9, v15, v[18:19]
	v_mov_b32_e32 v13, v18
	v_add_u32_e32 v19, 0x5a, v43
	v_lshl_add_u64 v[36:37], v[12:13], 3, v[10:11]
	;; [unrolled: 6-line block ×5, first 2 shown]
	v_mad_u64_u32 v[12:13], s[18:19], s8, v19, 0
	v_mov_b32_e32 v18, v13
	v_mad_u64_u32 v[18:19], s[18:19], s9, v19, v[18:19]
	v_mov_b32_e32 v13, v18
	v_lshl_add_u64 v[46:47], v[12:13], 3, v[10:11]
	global_load_dwordx2 v[28:29], v[30:31], off
	global_load_dwordx2 v[26:27], v[32:33], off
	global_load_dwordx2 v[20:21], v[34:35], off
	global_load_dwordx2 v[10:11], v[36:37], off
	global_load_dwordx2 v[22:23], v[38:39], off
	global_load_dwordx2 v[12:13], v[40:41], off
	global_load_dwordx2 v[24:25], v[44:45], off
	global_load_dwordx2 v[18:19], v[46:47], off
.LBB0_7:
	s_or_b64 exec, exec, s[16:17]
	s_cbranch_execz .LBB0_9
	s_branch .LBB0_10
.LBB0_8:
                                        ; implicit-def: $vgpr5
                                        ; implicit-def: $vgpr3
                                        ; implicit-def: $vgpr27
                                        ; implicit-def: $vgpr29
                                        ; implicit-def: $vgpr9
                                        ; implicit-def: $vgpr7
                                        ; implicit-def: $vgpr11
                                        ; implicit-def: $vgpr13
                                        ; implicit-def: $vgpr19
                                        ; implicit-def: $vgpr25
                                        ; implicit-def: $vgpr23
                                        ; implicit-def: $vgpr21
                                        ; implicit-def: $vgpr42
                                        ; implicit-def: $vgpr15
                                        ; implicit-def: $vgpr1
	s_andn2_b64 vcc, exec, s[16:17]
	s_cbranch_vccnz .LBB0_10
.LBB0_9:
	s_waitcnt vmcnt(10)
	v_mad_u64_u32 v[2:3], s[16:17], s4, v14, 0
	s_waitcnt vmcnt(8)
	v_mov_b32_e32 v4, v3
	v_mad_u64_u32 v[4:5], s[16:17], s5, v14, v[4:5]
	v_mov_b32_e32 v3, v4
	v_mad_u64_u32 v[4:5], s[16:17], s8, v43, 0
	;; [unrolled: 2-line block ×3, first 2 shown]
	s_lshl_b64 s[16:17], s[6:7], 3
	s_add_u32 s16, s10, s16
	s_addc_u32 s17, s11, s17
	v_add_u32_e32 v1, 36, v43
	v_mov_b32_e32 v5, v6
	s_waitcnt vmcnt(4)
	v_lshl_add_u64 v[10:11], v[2:3], 3, s[16:17]
	v_mad_u64_u32 v[2:3], s[16:17], s8, v1, 0
	s_waitcnt vmcnt(2)
	v_lshl_add_u64 v[12:13], v[4:5], 3, v[10:11]
	v_mov_b32_e32 v4, v3
	v_mad_u64_u32 v[4:5], s[16:17], s9, v1, v[4:5]
	v_mov_b32_e32 v3, v4
	v_add_u32_e32 v5, 0x48, v43
	s_waitcnt vmcnt(0)
	v_lshl_add_u64 v[18:19], v[2:3], 3, v[10:11]
	v_mad_u64_u32 v[2:3], s[16:17], s8, v5, 0
	v_mov_b32_e32 v4, v3
	v_mad_u64_u32 v[4:5], s[16:17], s9, v5, v[4:5]
	v_mov_b32_e32 v3, v4
	v_add_u32_e32 v5, 0x6c, v43
	v_lshl_add_u64 v[20:21], v[2:3], 3, v[10:11]
	v_mad_u64_u32 v[2:3], s[16:17], s8, v5, 0
	v_mov_b32_e32 v4, v3
	v_mad_u64_u32 v[4:5], s[16:17], s9, v5, v[4:5]
	v_mov_b32_e32 v3, v4
	v_add_u32_e32 v5, 0x90, v43
	;; [unrolled: 6-line block ×4, first 2 shown]
	v_lshl_add_u64 v[32:33], v[2:3], 3, v[10:11]
	global_load_dwordx2 v[6:7], v[12:13], off
	global_load_dwordx2 v[2:3], v[18:19], off
	;; [unrolled: 1-line block ×4, first 2 shown]
	v_mad_u64_u32 v[12:13], s[16:17], s8, v42, 0
	v_mov_b32_e32 v18, v13
	v_mad_u64_u32 v[18:19], s[16:17], s9, v42, v[18:19]
	v_mov_b32_e32 v13, v18
	v_add_u32_e32 v15, 54, v43
	v_lshl_add_u64 v[34:35], v[12:13], 3, v[10:11]
	v_mad_u64_u32 v[12:13], s[16:17], s8, v15, 0
	v_mov_b32_e32 v18, v13
	v_mad_u64_u32 v[18:19], s[16:17], s9, v15, v[18:19]
	v_mov_b32_e32 v13, v18
	v_add_u32_e32 v19, 0x5a, v43
	v_lshl_add_u64 v[36:37], v[12:13], 3, v[10:11]
	;; [unrolled: 6-line block ×5, first 2 shown]
	v_mad_u64_u32 v[12:13], s[16:17], s8, v19, 0
	v_mov_b32_e32 v18, v13
	v_mad_u64_u32 v[18:19], s[16:17], s9, v19, v[18:19]
	v_mov_b32_e32 v13, v18
	v_lshl_add_u64 v[46:47], v[12:13], 3, v[10:11]
	global_load_dwordx2 v[28:29], v[30:31], off
	global_load_dwordx2 v[26:27], v[32:33], off
	;; [unrolled: 1-line block ×8, first 2 shown]
.LBB0_10:
	s_waitcnt vmcnt(7)
	v_pk_add_f32 v[40:41], v[8:9], v[28:29]
	s_mov_b32 s16, 0x3f5db3d7
	v_pk_add_f32 v[30:31], v[6:7], v[8:9]
	v_pk_fma_f32 v[6:7], v[40:41], 0.5, v[6:7] op_sel_hi:[1,0,1] neg_lo:[1,0,0] neg_hi:[1,0,0]
	v_pk_add_f32 v[8:9], v[8:9], v[28:29] neg_lo:[0,1] neg_hi:[0,1]
	s_mov_b32 s17, 0xbf5db3d7
	s_waitcnt vmcnt(6)
	v_pk_add_f32 v[40:41], v[26:27], v[4:5]
	v_pk_add_f32 v[32:33], v[2:3], v[4:5]
	v_pk_mul_f32 v[8:9], v[8:9], s[16:17] op_sel_hi:[1,0]
	v_pk_fma_f32 v[2:3], v[40:41], 0.5, v[2:3] op_sel_hi:[1,0,1] neg_lo:[1,0,0] neg_hi:[1,0,0]
	v_pk_add_f32 v[4:5], v[4:5], v[26:27] neg_lo:[0,1] neg_hi:[0,1]
	v_pk_add_f32 v[30:31], v[30:31], v[28:29]
	v_pk_add_f32 v[32:33], v[26:27], v[32:33]
	v_pk_add_f32 v[28:29], v[8:9], v[6:7] op_sel:[1,0] op_sel_hi:[0,1]
	v_pk_add_f32 v[6:7], v[6:7], v[8:9] op_sel:[0,1] op_sel_hi:[1,0] neg_lo:[0,1] neg_hi:[0,1]
	v_pk_fma_f32 v[26:27], v[4:5], s[16:17], v[2:3] op_sel:[0,0,1] op_sel_hi:[1,0,0]
	v_pk_fma_f32 v[2:3], v[4:5], s[16:17], v[2:3] op_sel:[0,0,1] op_sel_hi:[1,0,0] neg_lo:[1,0,0] neg_hi:[1,0,0]
	v_mov_b32_e32 v8, v6
	v_mov_b32_e32 v9, v29
	;; [unrolled: 1-line block ×4, first 2 shown]
	v_mul_f32_e32 v6, 0.5, v27
	v_mul_f32_e32 v29, 0xbf5db3d7, v27
	v_fmac_f32_e32 v6, 0x3f5db3d7, v2
	v_fmac_f32_e32 v29, 0.5, v2
	v_pk_mul_f32 v[2:3], v[4:5], 0.5 op_sel_hi:[1,0]
	v_mul_u32_u24_e32 v38, 0x2a0, v43
	v_lshlrev_b32_e32 v60, 3, v14
	v_pk_fma_f32 v[2:3], v[4:5], s[16:17], v[2:3] op_sel:[0,0,1] op_sel_hi:[1,1,0] neg_lo:[0,0,1] neg_hi:[0,0,1]
	v_add3_u32 v45, 0, v38, v60
	v_add_f32_e32 v26, v28, v6
	v_add_f32_e32 v27, v7, v29
	v_pk_add_f32 v[4:5], v[8:9], v[2:3]
	v_sub_f32_e32 v6, v28, v6
	v_sub_f32_e32 v7, v7, v29
	v_pk_add_f32 v[2:3], v[8:9], v[2:3] neg_lo:[0,1] neg_hi:[0,1]
	s_waitcnt vmcnt(3)
	v_pk_add_f32 v[34:35], v[20:21], v[22:23]
	v_pk_add_f32 v[38:39], v[30:31], v[32:33]
	ds_write2_b64 v45, v[6:7], v[2:3] offset0:56 offset1:70
	v_mul_i32_i24_e32 v2, 0x2a0, v42
	s_waitcnt vmcnt(1)
	v_pk_add_f32 v[8:9], v[22:23], v[24:25]
	ds_write2_b64 v45, v[38:39], v[26:27] offset1:14
	v_add3_u32 v38, 0, v2, v60
	v_pk_add_f32 v[2:3], v[34:35], v[24:25]
	v_pk_fma_f32 v[8:9], v[8:9], 0.5, v[20:21] op_sel_hi:[1,0,1] neg_lo:[1,0,0] neg_hi:[1,0,0]
	v_pk_add_f32 v[20:21], v[22:23], v[24:25] neg_lo:[0,1] neg_hi:[0,1]
	s_waitcnt vmcnt(0)
	v_pk_add_f32 v[24:25], v[12:13], v[18:19]
	v_pk_add_f32 v[36:37], v[12:13], v[10:11]
	v_pk_add_f32 v[26:27], v[30:31], v[32:33] neg_lo:[0,1] neg_hi:[0,1]
	v_pk_mul_f32 v[20:21], v[20:21], s[16:17] op_sel_hi:[1,0]
	v_pk_fma_f32 v[10:11], v[24:25], 0.5, v[10:11] op_sel_hi:[1,0,1] neg_lo:[1,0,0] neg_hi:[1,0,0]
	v_pk_add_f32 v[12:13], v[12:13], v[18:19] neg_lo:[0,1] neg_hi:[0,1]
	ds_write2_b64 v45, v[4:5], v[26:27] offset0:28 offset1:42
	v_pk_add_f32 v[4:5], v[18:19], v[36:37]
	v_pk_add_f32 v[22:23], v[20:21], v[8:9] op_sel:[1,0] op_sel_hi:[0,1]
	v_pk_add_f32 v[8:9], v[8:9], v[20:21] op_sel:[0,1] op_sel_hi:[1,0] neg_lo:[0,1] neg_hi:[0,1]
	v_pk_fma_f32 v[18:19], v[12:13], s[16:17], v[10:11] op_sel:[0,0,1] op_sel_hi:[1,0,0]
	v_pk_fma_f32 v[10:11], v[12:13], s[16:17], v[10:11] op_sel:[0,0,1] op_sel_hi:[1,0,0] neg_lo:[1,0,0] neg_hi:[1,0,0]
	v_mov_b32_e32 v20, v8
	v_mov_b32_e32 v21, v23
	;; [unrolled: 1-line block ×4, first 2 shown]
	v_mul_f32_e32 v8, 0.5, v19
	v_mul_f32_e32 v23, 0xbf5db3d7, v19
	v_fmac_f32_e32 v8, 0x3f5db3d7, v10
	v_fmac_f32_e32 v23, 0.5, v10
	v_pk_mul_f32 v[10:11], v[12:13], 0.5 op_sel_hi:[1,0]
	s_movk_i32 s18, 0xab
	v_pk_fma_f32 v[10:11], v[12:13], s[16:17], v[10:11] op_sel:[0,0,1] op_sel_hi:[1,1,0] neg_lo:[0,0,1] neg_hi:[0,0,1]
	v_pk_add_f32 v[6:7], v[2:3], v[4:5]
	v_pk_add_f32 v[12:13], v[20:21], v[10:11]
	v_pk_add_f32 v[2:3], v[2:3], v[4:5] neg_lo:[0,1] neg_hi:[0,1]
	v_mul_lo_u16_sdwa v62, v1, s18 dst_sel:DWORD dst_unused:UNUSED_PAD src0_sel:BYTE_0 src1_sel:DWORD
	v_add_f32_e32 v18, v22, v8
	v_add_f32_e32 v19, v9, v23
	v_sub_f32_e32 v8, v22, v8
	v_sub_f32_e32 v9, v9, v23
	ds_write2_b64 v38, v[12:13], v[2:3] offset0:28 offset1:42
	v_pk_add_f32 v[2:3], v[20:21], v[10:11] neg_lo:[0,1] neg_hi:[0,1]
	v_lshrrev_b16_e32 v63, 10, v62
	ds_write2_b64 v38, v[8:9], v[2:3] offset0:56 offset1:70
	v_mul_lo_u16_e32 v3, 6, v63
	v_mov_b32_e32 v44, 3
	v_sub_u16_e32 v64, v1, v3
	v_mul_u32_u24_sdwa v3, v64, v44 dst_sel:DWORD dst_unused:UNUSED_PAD src0_sel:BYTE_0 src1_sel:DWORD
	ds_write2_b64 v38, v[6:7], v[18:19] offset1:14
	v_mul_lo_u16_sdwa v61, v42, s18 dst_sel:DWORD dst_unused:UNUSED_PAD src0_sel:BYTE_0 src1_sel:DWORD
	v_lshlrev_b32_e32 v6, 3, v3
	s_waitcnt lgkmcnt(0)
	s_barrier
	v_lshrrev_b16_e32 v47, 10, v61
	global_load_dwordx2 v[12:13], v6, s[12:13] offset:16
	v_mul_lo_u16_e32 v3, 6, v47
	v_sub_u16_e32 v65, v42, v3
	v_mul_lo_u16_e32 v23, 43, v43
	v_mov_b32_e32 v2, 6
	v_mul_u32_u24_sdwa v3, v65, v44 dst_sel:DWORD dst_unused:UNUSED_PAD src0_sel:BYTE_0 src1_sel:DWORD
	v_mul_lo_u16_sdwa v2, v23, v2 dst_sel:DWORD dst_unused:UNUSED_PAD src0_sel:BYTE_1 src1_sel:DWORD
	v_lshlrev_b32_e32 v7, 3, v3
	global_load_dwordx2 v[18:19], v7, s[12:13] offset:16
	v_sub_u16_e32 v66, v43, v2
	v_mul_u32_u24_sdwa v2, v66, v44 dst_sel:DWORD dst_unused:UNUSED_PAD src0_sel:BYTE_0 src1_sel:DWORD
	v_lshlrev_b32_e32 v67, 3, v2
	global_load_dwordx4 v[2:5], v67, s[12:13]
	global_load_dwordx4 v[8:11], v7, s[12:13]
	;; [unrolled: 1-line block ×3, first 2 shown]
	s_movk_i32 s19, 0xfdd0
	v_mad_i32_i24 v20, v43, s19, v45
	v_add_u32_e32 v6, 0x4ec0, v20
	ds_read2_b64 v[28:31], v6 offset1:252
	v_mul_i32_i24_e32 v7, 0x70, v15
	v_add3_u32 v21, 0, v7, v60
	v_add_u32_e32 v7, 0x2f40, v20
	v_mad_i32_i24 v22, v42, s19, v38
	ds_read2_b64 v[32:35], v7 offset1:252
	v_add_u32_e32 v45, 0x1f80, v20
	v_add_u32_e32 v46, 0x3f00, v20
	v_cmp_gt_u64_e32 vcc, s[14:15], v[16:17]
	s_or_b64 s[2:3], s[2:3], vcc
	s_waitcnt vmcnt(4) lgkmcnt(1)
	v_pk_mul_f32 v[36:37], v[30:31], v[12:13] op_sel:[0,1]
	s_nop 0
	v_pk_fma_f32 v[38:39], v[30:31], v[12:13], v[36:37] op_sel:[0,0,1] op_sel_hi:[1,1,0] neg_lo:[0,0,1] neg_hi:[0,0,1]
	v_pk_fma_f32 v[12:13], v[30:31], v[12:13], v[36:37] op_sel:[0,0,1] op_sel_hi:[1,0,0]
	ds_read_b64 v[30:31], v22
	ds_read_b64 v[36:37], v21
	v_mov_b32_e32 v39, v13
	s_waitcnt vmcnt(3)
	v_pk_mul_f32 v[40:41], v[28:29], v[18:19] op_sel:[0,1]
	s_nop 0
	v_pk_fma_f32 v[48:49], v[28:29], v[18:19], v[40:41] op_sel:[0,0,1] op_sel_hi:[1,1,0] neg_lo:[0,0,1] neg_hi:[0,0,1]
	v_pk_fma_f32 v[18:19], v[28:29], v[18:19], v[40:41] op_sel:[0,0,1] op_sel_hi:[1,0,0]
	s_waitcnt vmcnt(2) lgkmcnt(0)
	v_pk_mul_f32 v[40:41], v[2:3], v[36:37] op_sel:[0,1]
	ds_read_b64 v[28:29], v20
	v_pk_fma_f32 v[50:51], v[2:3], v[36:37], v[40:41] op_sel:[0,0,1] op_sel_hi:[1,1,0] neg_lo:[0,0,1] neg_hi:[0,0,1]
	v_pk_fma_f32 v[36:37], v[2:3], v[36:37], v[40:41] op_sel:[0,0,1] op_sel_hi:[1,0,0]
	v_pk_mul_f32 v[2:3], v[4:5], v[32:33] op_sel:[0,1]
	v_mov_b32_e32 v51, v37
	v_pk_fma_f32 v[40:41], v[4:5], v[32:33], v[2:3] op_sel:[0,0,1] op_sel_hi:[1,1,0] neg_lo:[0,0,1] neg_hi:[0,0,1]
	v_pk_fma_f32 v[32:33], v[4:5], v[32:33], v[2:3] op_sel:[0,0,1] op_sel_hi:[1,0,0]
	s_waitcnt vmcnt(1)
	v_mov_b32_e32 v2, v11
	v_pk_mul_f32 v[2:3], v[34:35], v[2:3] op_sel_hi:[1,0]
	v_mov_b32_e32 v41, v33
	v_pk_fma_f32 v[52:53], v[34:35], v[10:11], v[2:3] op_sel:[0,0,1] op_sel_hi:[1,1,0] neg_lo:[0,0,1] neg_hi:[0,0,1]
	v_pk_fma_f32 v[10:11], v[34:35], v[10:11], v[2:3] op_sel:[0,0,1] op_sel_hi:[1,0,0]
	ds_read2_b64 v[2:5], v45 offset1:252
	v_mov_b32_e32 v53, v11
	v_mov_b32_e32 v49, v19
	s_waitcnt lgkmcnt(0)
	v_pk_mul_f32 v[34:35], v[8:9], v[2:3] op_sel:[0,1]
	s_nop 0
	v_pk_fma_f32 v[54:55], v[8:9], v[2:3], v[34:35] op_sel:[0,0,1] op_sel_hi:[1,1,0] neg_lo:[0,0,1] neg_hi:[0,0,1]
	v_pk_fma_f32 v[8:9], v[8:9], v[2:3], v[34:35] op_sel:[0,0,1] op_sel_hi:[1,0,0]
	s_waitcnt vmcnt(0)
	v_pk_mul_f32 v[2:3], v[4:5], v[24:25] op_sel:[0,1]
	v_mov_b32_e32 v8, v27
	v_pk_fma_f32 v[34:35], v[4:5], v[24:25], v[2:3] op_sel:[0,0,1] op_sel_hi:[1,1,0] neg_lo:[0,0,1] neg_hi:[0,0,1]
	v_pk_fma_f32 v[24:25], v[4:5], v[24:25], v[2:3] op_sel:[0,0,1] op_sel_hi:[1,0,0]
	ds_read2_b64 v[2:5], v46 offset1:252
	v_mov_b32_e32 v55, v9
	v_mov_b32_e32 v35, v25
	v_pk_add_f32 v[24:25], v[34:35], v[38:39] neg_lo:[0,1] neg_hi:[0,1]
	s_waitcnt lgkmcnt(0)
	v_pk_mul_f32 v[56:57], v[2:3], v[8:9] op_sel_hi:[1,0]
	s_nop 0
	v_pk_fma_f32 v[58:59], v[2:3], v[26:27], v[56:57] op_sel:[0,0,1] op_sel_hi:[1,1,0] neg_lo:[0,0,1] neg_hi:[0,0,1]
	v_pk_fma_f32 v[2:3], v[2:3], v[26:27], v[56:57] op_sel:[0,0,1] op_sel_hi:[1,0,0]
	v_mul_u32_u24_e32 v8, 24, v47
	v_mov_b32_e32 v2, 24
	v_mul_u32_u24_sdwa v2, v23, v2 dst_sel:DWORD dst_unused:UNUSED_PAD src0_sel:BYTE_1 src1_sel:DWORD
	v_mov_b32_e32 v59, v3
	v_or_b32_sdwa v10, v2, v66 dst_sel:DWORD dst_unused:UNUSED_PAD src0_sel:DWORD src1_sel:BYTE_0
	global_load_dwordx2 v[2:3], v67, s[12:13] offset:16
	v_or_b32_sdwa v12, v8, v65 dst_sel:DWORD dst_unused:UNUSED_PAD src0_sel:DWORD src1_sel:BYTE_0
	v_mul_i32_i24_e32 v8, 0x70, v1
	v_mul_u32_u24_e32 v10, 0x70, v10
	v_add3_u32 v47, 0, v8, v60
	ds_read_b64 v[8:9], v47
	v_add3_u32 v23, 0, v10, v60
	v_mul_u32_u24_e32 v10, 0x70, v12
	v_add3_u32 v56, 0, v10, v60
	v_mul_u32_u24_e32 v10, 24, v63
	v_or_b32_sdwa v10, v10, v64 dst_sel:DWORD dst_unused:UNUSED_PAD src0_sel:DWORD src1_sel:BYTE_0
	v_mul_u32_u24_e32 v10, 0x70, v10
	v_add3_u32 v57, 0, v10, v60
	v_pk_add_f32 v[10:11], v[30:31], v[52:53] neg_lo:[0,1] neg_hi:[0,1]
	v_pk_fma_f32 v[26:27], v[34:35], 2.0, v[24:25] op_sel_hi:[1,0,1] neg_lo:[0,0,1] neg_hi:[0,0,1]
	v_pk_fma_f32 v[18:19], v[30:31], 2.0, v[10:11] op_sel_hi:[1,0,1] neg_lo:[0,0,1] neg_hi:[0,0,1]
	v_pk_add_f32 v[30:31], v[54:55], v[48:49] neg_lo:[0,1] neg_hi:[0,1]
	s_waitcnt lgkmcnt(0)
	v_pk_fma_f32 v[34:35], v[54:55], 2.0, v[30:31] op_sel_hi:[1,0,1] neg_lo:[0,0,1] neg_hi:[0,0,1]
	s_barrier
	v_pk_add_f32 v[34:35], v[18:19], v[34:35] neg_lo:[0,1] neg_hi:[0,1]
	v_pk_add_f32 v[12:13], v[8:9], v[58:59] neg_lo:[0,1] neg_hi:[0,1]
	v_pk_fma_f32 v[18:19], v[18:19], 2.0, v[34:35] op_sel_hi:[1,0,1] neg_lo:[0,0,1] neg_hi:[0,0,1]
	v_pk_fma_f32 v[8:9], v[8:9], 2.0, v[12:13] op_sel_hi:[1,0,1] neg_lo:[0,0,1] neg_hi:[0,0,1]
	v_lshrrev_b16_e32 v53, 12, v62
	v_pk_add_f32 v[26:27], v[8:9], v[26:27] neg_lo:[0,1] neg_hi:[0,1]
	s_waitcnt vmcnt(0)
	v_pk_mul_f32 v[32:33], v[2:3], v[4:5] op_sel:[0,1]
	s_nop 0
	v_pk_fma_f32 v[36:37], v[2:3], v[4:5], v[32:33] op_sel:[0,0,1] op_sel_hi:[1,1,0] neg_lo:[0,0,1] neg_hi:[0,0,1]
	v_pk_fma_f32 v[2:3], v[2:3], v[4:5], v[32:33] op_sel:[0,0,1] op_sel_hi:[1,0,0]
	v_pk_fma_f32 v[8:9], v[8:9], 2.0, v[26:27] op_sel_hi:[1,0,1] neg_lo:[0,0,1] neg_hi:[0,0,1]
	v_mov_b32_e32 v37, v3
	v_pk_add_f32 v[2:3], v[28:29], v[40:41] neg_lo:[0,1] neg_hi:[0,1]
	s_nop 0
	v_pk_fma_f32 v[4:5], v[28:29], 2.0, v[2:3] op_sel_hi:[1,0,1] neg_lo:[0,0,1] neg_hi:[0,0,1]
	v_pk_add_f32 v[28:29], v[50:51], v[36:37] neg_lo:[0,1] neg_hi:[0,1]
	s_nop 0
	v_pk_fma_f32 v[32:33], v[50:51], 2.0, v[28:29] op_sel_hi:[1,0,1] neg_lo:[0,0,1] neg_hi:[0,0,1]
	v_pk_add_f32 v[36:37], v[2:3], v[28:29] op_sel:[0,1] op_sel_hi:[1,0] neg_lo:[0,1] neg_hi:[0,1]
	v_pk_add_f32 v[28:29], v[2:3], v[28:29] op_sel:[0,1] op_sel_hi:[1,0]
	v_pk_add_f32 v[32:33], v[4:5], v[32:33] neg_lo:[0,1] neg_hi:[0,1]
	v_mov_b32_e32 v37, v29
	v_pk_fma_f32 v[4:5], v[4:5], 2.0, v[32:33] op_sel_hi:[1,0,1] neg_lo:[0,0,1] neg_hi:[0,0,1]
	v_pk_fma_f32 v[2:3], v[2:3], 2.0, v[36:37] op_sel_hi:[1,0,1] neg_lo:[0,0,1] neg_hi:[0,0,1]
	ds_write2_b64 v23, v[4:5], v[2:3] offset1:84
	ds_write2_b64 v23, v[32:33], v[36:37] offset0:168 offset1:252
	v_pk_add_f32 v[2:3], v[10:11], v[30:31] op_sel:[0,1] op_sel_hi:[1,0] neg_lo:[0,1] neg_hi:[0,1]
	v_pk_add_f32 v[4:5], v[10:11], v[30:31] op_sel:[0,1] op_sel_hi:[1,0]
	s_nop 0
	v_mov_b32_e32 v3, v5
	v_pk_fma_f32 v[4:5], v[10:11], 2.0, v[2:3] op_sel_hi:[1,0,1] neg_lo:[0,0,1] neg_hi:[0,0,1]
	ds_write2_b64 v56, v[18:19], v[4:5] offset1:84
	ds_write2_b64 v56, v[34:35], v[2:3] offset0:168 offset1:252
	v_pk_add_f32 v[2:3], v[12:13], v[24:25] op_sel:[0,1] op_sel_hi:[1,0] neg_lo:[0,1] neg_hi:[0,1]
	v_pk_add_f32 v[4:5], v[12:13], v[24:25] op_sel:[0,1] op_sel_hi:[1,0]
	s_nop 0
	v_mov_b32_e32 v3, v5
	v_pk_fma_f32 v[4:5], v[12:13], 2.0, v[2:3] op_sel_hi:[1,0,1] neg_lo:[0,0,1] neg_hi:[0,0,1]
	ds_write2_b64 v57, v[8:9], v[4:5] offset1:84
	ds_write2_b64 v57, v[26:27], v[2:3] offset0:168 offset1:252
	v_mul_lo_u16_sdwa v2, v15, s18 dst_sel:DWORD dst_unused:UNUSED_PAD src0_sel:BYTE_0 src1_sel:DWORD
	v_lshrrev_b16_e32 v23, 12, v2
	v_mul_lo_u16_e32 v2, 24, v23
	v_sub_u16_e32 v2, v15, v2
	v_and_b32_e32 v52, 0xff, v2
	v_lshlrev_b32_e32 v2, 4, v52
	s_waitcnt lgkmcnt(0)
	s_barrier
	global_load_dwordx4 v[2:5], v2, s[12:13] offset:144
	v_mul_lo_u16_e32 v8, 24, v53
	v_sub_u16_e32 v8, v1, v8
	v_lshrrev_b16_e32 v13, 12, v61
	v_and_b32_e32 v54, 0xff, v8
	v_mul_lo_u16_e32 v18, 24, v13
	v_lshlrev_b32_e32 v8, 4, v54
	global_load_dwordx4 v[8:11], v8, s[12:13] offset:144
	v_sub_u16_e32 v18, v42, v18
	v_mul_lo_u16_e32 v12, 11, v43
	v_and_b32_e32 v18, 0xff, v18
	v_lshlrev_b32_e32 v19, 4, v18
	v_lshrrev_b16_e32 v12, 8, v12
	global_load_dwordx4 v[24:27], v19, s[12:13] offset:144
	v_mul_lo_u16_e32 v19, 24, v12
	v_sub_u16_e32 v19, v43, v19
	v_and_b32_e32 v19, 0xff, v19
	v_lshlrev_b32_e32 v28, 4, v19
	global_load_dwordx4 v[28:31], v28, s[12:13] offset:144
	ds_read2_b64 v[32:35], v45 offset1:252
	ds_read2_b64 v[36:39], v7 offset1:252
	s_movk_i32 s18, 0x48
	v_mad_u32_u24 v55, v12, s18, v19
	v_mad_u32_u24 v56, v13, s18, v18
	ds_read2_b64 v[48:51], v6 offset1:252
	s_waitcnt vmcnt(3) lgkmcnt(1)
	v_pk_mul_f32 v[12:13], v[38:39], v[2:3] op_sel:[0,1]
	s_nop 0
	v_pk_fma_f32 v[18:19], v[38:39], v[2:3], v[12:13] op_sel:[0,0,1] op_sel_hi:[1,1,0] neg_lo:[0,0,1] neg_hi:[0,0,1]
	v_pk_fma_f32 v[12:13], v[38:39], v[2:3], v[12:13] op_sel:[0,0,1] op_sel_hi:[1,0,0]
	v_mov_b32_e32 v2, v5
	v_mul_u32_u24_e32 v12, 0x70, v55
	v_add3_u32 v57, 0, v12, v60
	v_mul_u32_u24_e32 v12, 0x70, v56
	v_add3_u32 v56, 0, v12, v60
	v_mad_u32_u24 v12, v53, s18, v54
	v_mul_u32_u24_e32 v12, 0x70, v12
	v_add3_u32 v58, 0, v12, v60
	v_mad_u32_u24 v12, v23, s18, v52
	s_waitcnt lgkmcnt(0)
	v_pk_mul_f32 v[2:3], v[50:51], v[2:3] op_sel_hi:[1,0]
	v_mul_u32_u24_e32 v12, 0x70, v12
	v_pk_fma_f32 v[38:39], v[50:51], v[4:5], v[2:3] op_sel:[0,0,1] op_sel_hi:[1,1,0] neg_lo:[0,0,1] neg_hi:[0,0,1]
	v_pk_fma_f32 v[40:41], v[50:51], v[4:5], v[2:3] op_sel:[0,0,1] op_sel_hi:[1,0,0]
	ds_read2_b64 v[2:5], v46 offset1:252
	v_add3_u32 v23, 0, v12, v60
	v_mov_b32_e32 v19, v13
	s_waitcnt vmcnt(2)
	v_pk_mul_f32 v[12:13], v[8:9], v[36:37] op_sel:[0,1]
	v_mov_b32_e32 v39, v41
	v_pk_fma_f32 v[40:41], v[8:9], v[36:37], v[12:13] op_sel:[0,0,1] op_sel_hi:[1,1,0] neg_lo:[0,0,1] neg_hi:[0,0,1]
	v_pk_fma_f32 v[8:9], v[8:9], v[36:37], v[12:13] op_sel:[0,0,1] op_sel_hi:[1,0,0]
	ds_read_b64 v[50:51], v21
	v_mov_b32_e32 v8, v11
	v_pk_mul_f32 v[12:13], v[48:49], v[8:9] op_sel_hi:[1,0]
	v_mov_b32_e32 v41, v9
	v_pk_fma_f32 v[36:37], v[48:49], v[10:11], v[12:13] op_sel:[0,0,1] op_sel_hi:[1,1,0] neg_lo:[0,0,1] neg_hi:[0,0,1]
	v_pk_fma_f32 v[10:11], v[48:49], v[10:11], v[12:13] op_sel:[0,0,1] op_sel_hi:[1,0,0]
	s_waitcnt vmcnt(1)
	v_pk_mul_f32 v[12:13], v[24:25], v[34:35] op_sel:[0,1]
	v_mov_b32_e32 v37, v11
	v_pk_fma_f32 v[48:49], v[24:25], v[34:35], v[12:13] op_sel:[0,0,1] op_sel_hi:[1,1,0] neg_lo:[0,0,1] neg_hi:[0,0,1]
	v_pk_fma_f32 v[12:13], v[24:25], v[34:35], v[12:13] op_sel:[0,0,1] op_sel_hi:[1,0,0]
	s_waitcnt lgkmcnt(1)
	v_pk_mul_f32 v[24:25], v[26:27], v[4:5] op_sel:[0,1]
	v_mov_b32_e32 v49, v13
	v_pk_fma_f32 v[34:35], v[26:27], v[4:5], v[24:25] op_sel:[0,0,1] op_sel_hi:[1,1,0] neg_lo:[0,0,1] neg_hi:[0,0,1]
	v_pk_fma_f32 v[4:5], v[26:27], v[4:5], v[24:25] op_sel:[0,0,1] op_sel_hi:[1,0,0]
	s_waitcnt vmcnt(0)
	v_pk_mul_f32 v[24:25], v[28:29], v[32:33] op_sel:[0,1]
	v_mov_b32_e32 v35, v5
	v_pk_fma_f32 v[26:27], v[28:29], v[32:33], v[24:25] op_sel:[0,0,1] op_sel_hi:[1,1,0] neg_lo:[0,0,1] neg_hi:[0,0,1]
	v_pk_fma_f32 v[24:25], v[28:29], v[32:33], v[24:25] op_sel:[0,0,1] op_sel_hi:[1,0,0]
	v_pk_mul_f32 v[28:29], v[30:31], v[2:3] op_sel:[0,1]
	v_mov_b32_e32 v27, v25
	v_pk_fma_f32 v[32:33], v[30:31], v[2:3], v[28:29] op_sel:[0,0,1] op_sel_hi:[1,1,0] neg_lo:[0,0,1] neg_hi:[0,0,1]
	v_pk_fma_f32 v[2:3], v[30:31], v[2:3], v[28:29] op_sel:[0,0,1] op_sel_hi:[1,0,0]
	ds_read_b64 v[28:29], v47
	ds_read_b64 v[30:31], v22
	;; [unrolled: 1-line block ×3, first 2 shown]
	v_mov_b32_e32 v33, v3
	s_waitcnt lgkmcnt(0)
	s_barrier
	v_pk_add_f32 v[2:3], v[52:53], v[26:27]
	v_pk_add_f32 v[10:11], v[26:27], v[32:33] neg_lo:[0,1] neg_hi:[0,1]
	v_pk_add_f32 v[2:3], v[2:3], v[32:33]
	ds_write_b64 v57, v[2:3]
	v_pk_add_f32 v[2:3], v[26:27], v[32:33]
	v_pk_mul_f32 v[10:11], v[10:11], s[16:17] op_sel_hi:[1,0]
	v_pk_fma_f32 v[2:3], v[2:3], 0.5, v[52:53] op_sel_hi:[1,0,1] neg_lo:[1,0,0] neg_hi:[1,0,0]
	v_pk_add_f32 v[4:5], v[30:31], v[48:49]
	v_pk_add_f32 v[12:13], v[2:3], v[10:11] op_sel:[0,1] op_sel_hi:[1,0]
	v_pk_add_f32 v[2:3], v[2:3], v[10:11] op_sel:[0,1] op_sel_hi:[1,0] neg_lo:[0,1] neg_hi:[0,1]
	v_pk_add_f32 v[4:5], v[4:5], v[34:35]
	v_mov_b32_e32 v10, v12
	v_mov_b32_e32 v11, v3
	;; [unrolled: 1-line block ×3, first 2 shown]
	ds_write_b64 v57, v[10:11] offset:2688
	ds_write_b64 v57, v[2:3] offset:5376
	ds_write_b64 v56, v[4:5]
	v_pk_add_f32 v[2:3], v[48:49], v[34:35]
	v_pk_add_f32 v[4:5], v[48:49], v[34:35] neg_lo:[0,1] neg_hi:[0,1]
	v_pk_fma_f32 v[2:3], v[2:3], 0.5, v[30:31] op_sel_hi:[1,0,1] neg_lo:[1,0,0] neg_hi:[1,0,0]
	v_pk_mul_f32 v[4:5], v[4:5], s[16:17] op_sel_hi:[1,0]
	v_pk_add_f32 v[8:9], v[28:29], v[40:41]
	v_pk_add_f32 v[10:11], v[2:3], v[4:5] op_sel:[0,1] op_sel_hi:[1,0]
	v_pk_add_f32 v[2:3], v[2:3], v[4:5] op_sel:[0,1] op_sel_hi:[1,0] neg_lo:[0,1] neg_hi:[0,1]
	v_mov_b32_e32 v4, v10
	v_mov_b32_e32 v5, v3
	;; [unrolled: 1-line block ×3, first 2 shown]
	v_pk_add_f32 v[8:9], v[8:9], v[36:37]
	ds_write_b64 v56, v[4:5] offset:2688
	ds_write_b64 v56, v[2:3] offset:5376
	ds_write_b64 v58, v[8:9]
	v_pk_add_f32 v[2:3], v[40:41], v[36:37]
	v_pk_add_f32 v[4:5], v[40:41], v[36:37] neg_lo:[0,1] neg_hi:[0,1]
	v_pk_fma_f32 v[2:3], v[2:3], 0.5, v[28:29] op_sel_hi:[1,0,1] neg_lo:[1,0,0] neg_hi:[1,0,0]
	v_pk_mul_f32 v[4:5], v[4:5], s[16:17] op_sel_hi:[1,0]
	v_pk_add_f32 v[54:55], v[50:51], v[18:19]
	v_pk_add_f32 v[8:9], v[2:3], v[4:5] op_sel:[0,1] op_sel_hi:[1,0]
	v_pk_add_f32 v[2:3], v[2:3], v[4:5] op_sel:[0,1] op_sel_hi:[1,0] neg_lo:[0,1] neg_hi:[0,1]
	v_mov_b32_e32 v4, v8
	v_mov_b32_e32 v5, v3
	;; [unrolled: 1-line block ×3, first 2 shown]
	v_pk_add_f32 v[54:55], v[54:55], v[38:39]
	ds_write_b64 v58, v[4:5] offset:2688
	ds_write_b64 v58, v[2:3] offset:5376
	ds_write_b64 v23, v[54:55]
	v_pk_add_f32 v[2:3], v[18:19], v[38:39]
	v_pk_add_f32 v[4:5], v[18:19], v[38:39] neg_lo:[0,1] neg_hi:[0,1]
	v_pk_fma_f32 v[2:3], v[2:3], 0.5, v[50:51] op_sel_hi:[1,0,1] neg_lo:[1,0,0] neg_hi:[1,0,0]
	v_pk_mul_f32 v[4:5], v[4:5], s[16:17] op_sel_hi:[1,0]
	s_nop 0
	v_pk_add_f32 v[8:9], v[2:3], v[4:5] op_sel:[0,1] op_sel_hi:[1,0]
	v_pk_add_f32 v[2:3], v[2:3], v[4:5] op_sel:[0,1] op_sel_hi:[1,0] neg_lo:[0,1] neg_hi:[0,1]
	v_mov_b32_e32 v4, v8
	v_mov_b32_e32 v5, v3
	;; [unrolled: 1-line block ×3, first 2 shown]
	ds_write_b64 v23, v[4:5] offset:2688
	ds_write_b64 v23, v[2:3] offset:5376
	s_waitcnt lgkmcnt(0)
	s_barrier
	s_and_saveexec_b64 s[14:15], s[2:3]
	s_cbranch_execz .LBB0_12
; %bb.11:
	s_movk_i32 s2, 0xfc
	v_subrev_u32_e32 v2, 18, v43
	v_cmp_gt_u32_e32 vcc, s2, v0
	v_mov_b32_e32 v19, 0
	s_load_dwordx2 s[0:1], s[0:1], 0x8
	v_cndmask_b32_e32 v8, v2, v15, vcc
	v_lshlrev_b32_e32 v18, 1, v8
	v_lshl_add_u64 v[2:3], v[18:19], 3, s[12:13]
	global_load_dwordx4 v[2:5], v[2:3], off offset:528
	v_add_u32_e32 v9, 0x48, v8
	v_mul_lo_u32 v9, v16, v9
	v_lshlrev_b32_sdwa v10, v44, v9 dst_sel:DWORD dst_unused:UNUSED_PAD src0_sel:DWORD src1_sel:BYTE_0
	v_lshlrev_b32_sdwa v11, v44, v9 dst_sel:DWORD dst_unused:UNUSED_PAD src0_sel:DWORD src1_sel:BYTE_1
	s_waitcnt lgkmcnt(0)
	global_load_dwordx2 v[30:31], v10, s[0:1]
	global_load_dwordx2 v[32:33], v11, s[0:1] offset:2048
	v_add_u32_e32 v10, 0x90, v8
	v_mul_lo_u32 v10, v16, v10
	v_lshlrev_b32_sdwa v11, v44, v10 dst_sel:DWORD dst_unused:UNUSED_PAD src0_sel:DWORD src1_sel:BYTE_0
	v_lshlrev_b32_sdwa v12, v44, v10 dst_sel:DWORD dst_unused:UNUSED_PAD src0_sel:DWORD src1_sel:BYTE_1
	global_load_dwordx2 v[34:35], v11, s[0:1]
	global_load_dwordx2 v[36:37], v12, s[0:1] offset:2048
	v_mov_b32_e32 v17, 0x1000
	v_bfe_u32 v10, v10, 16, 8
	v_lshl_or_b32 v10, v10, 3, v17
	global_load_dwordx2 v[28:29], v10, s[0:1]
	v_bfe_u32 v9, v9, 16, 8
	v_lshl_or_b32 v9, v9, 3, v17
	global_load_dwordx2 v[24:25], v9, s[0:1]
	v_mul_lo_u32 v8, v16, v8
	v_lshlrev_b32_sdwa v9, v44, v8 dst_sel:DWORD dst_unused:UNUSED_PAD src0_sel:DWORD src1_sel:BYTE_0
	v_lshlrev_b32_sdwa v10, v44, v8 dst_sel:DWORD dst_unused:UNUSED_PAD src0_sel:DWORD src1_sel:BYTE_1
	global_load_dwordx2 v[38:39], v9, s[0:1]
	global_load_dwordx2 v[40:41], v10, s[0:1] offset:2048
	v_bfe_u32 v8, v8, 16, 8
	v_lshl_or_b32 v8, v8, 3, v17
	global_load_dwordx2 v[26:27], v8, s[0:1]
	ds_read2_b64 v[10:13], v7 offset1:252
	ds_read2_b64 v[6:9], v6 offset1:252
	s_movk_i32 s2, 0x1f8
	v_subrev_u32_e32 v18, 36, v43
	v_cmp_gt_u32_e32 vcc, s2, v0
	ds_read_b64 v[22:23], v22
	ds_read_b64 v[52:53], v21
	;; [unrolled: 1-line block ×3, first 2 shown]
	v_cndmask_b32_e32 v54, v18, v1, vcc
	v_add_u32_e32 v48, 0x90, v54
	v_lshlrev_b32_e32 v18, 1, v54
	v_mul_lo_u32 v55, v16, v48
	v_lshl_add_u64 v[48:49], v[18:19], 3, s[12:13]
	s_movk_i32 s2, 0x2f4
	v_cmp_gt_u32_e32 vcc, s2, v0
	s_movk_i32 s2, 0x3f0
	s_waitcnt vmcnt(9) lgkmcnt(3)
	v_mul_f32_e32 v50, v9, v5
	v_mul_f32_e32 v57, v8, v5
	v_fma_f32 v8, v8, v4, -v50
	global_load_dwordx4 v[48:51], v[48:49], off offset:528
	v_mul_f32_e32 v18, v13, v3
	v_mul_f32_e32 v56, v12, v3
	v_fma_f32 v18, v12, v2, -v18
	v_fmac_f32_e32 v56, v13, v2
	v_fmac_f32_e32 v57, v9, v4
	s_waitcnt vmcnt(8)
	v_mul_f32_e32 v2, v31, v33
	s_waitcnt vmcnt(6)
	v_mul_f32_e32 v12, v34, v37
	v_fma_f32 v5, v30, v32, -v2
	v_add_f32_e32 v2, v56, v57
	v_mul_f32_e32 v3, v35, v37
	v_fmac_f32_e32 v12, v35, v36
	v_mul_f32_e32 v4, v30, v33
	v_fma_f32 v3, v34, v36, -v3
	v_add_f32_e32 v13, v18, v8
	s_waitcnt lgkmcnt(1)
	v_fma_f32 v36, -0.5, v2, v53
	s_waitcnt vmcnt(5)
	v_mul_f32_e32 v2, v12, v29
	v_fmac_f32_e32 v4, v31, v32
	v_sub_f32_e32 v9, v18, v8
	v_sub_f32_e32 v32, v56, v57
	v_fma_f32 v33, -0.5, v13, v52
	v_fma_f32 v30, v28, v3, -v2
	v_mul_f32_e32 v2, v3, v29
	v_fmamk_f32 v13, v9, 0x3f5db3d7, v36
	v_fmac_f32_e32 v2, v28, v12
	v_fmamk_f32 v12, v32, 0xbf5db3d7, v33
	v_mul_f32_e32 v3, v12, v2
	v_mul_f32_e32 v2, v13, v2
	v_lshlrev_b32_sdwa v31, v44, v55 dst_sel:DWORD dst_unused:UNUSED_PAD src0_sel:DWORD src1_sel:BYTE_0
	v_fma_f32 v2, v12, v30, -v2
	v_lshlrev_b32_sdwa v34, v44, v55 dst_sel:DWORD dst_unused:UNUSED_PAD src0_sel:DWORD src1_sel:BYTE_1
	v_fmac_f32_e32 v3, v13, v30
	global_load_dwordx2 v[12:13], v31, s[0:1]
	global_load_dwordx2 v[28:29], v34, s[0:1] offset:2048
	v_bfe_u32 v30, v55, 16, 8
	v_lshl_or_b32 v30, v30, 3, v17
	v_fmac_f32_e32 v36, 0xbf5db3d7, v9
	global_load_dwordx2 v[30:31], v30, s[0:1]
	s_waitcnt vmcnt(7)
	v_mul_f32_e32 v9, v4, v25
	v_mul_f32_e32 v25, v5, v25
	v_fmac_f32_e32 v33, 0x3f5db3d7, v32
	v_fma_f32 v9, v24, v5, -v9
	v_fmac_f32_e32 v25, v24, v4
	s_waitcnt vmcnt(5)
	v_mul_f32_e32 v24, v39, v41
	v_add_u32_e32 v32, 0x48, v54
	v_mul_f32_e32 v5, v33, v25
	v_mul_f32_e32 v4, v36, v25
	v_fma_f32 v24, v38, v40, -v24
	v_mul_f32_e32 v25, v38, v41
	v_mul_lo_u32 v38, v16, v32
	v_lshlrev_b32_sdwa v37, v44, v38 dst_sel:DWORD dst_unused:UNUSED_PAD src0_sel:DWORD src1_sel:BYTE_0
	v_fma_f32 v4, v33, v9, -v4
	v_fmac_f32_e32 v25, v39, v40
	v_lshlrev_b32_sdwa v39, v44, v38 dst_sel:DWORD dst_unused:UNUSED_PAD src0_sel:DWORD src1_sel:BYTE_1
	global_load_dwordx2 v[32:33], v37, s[0:1]
	global_load_dwordx2 v[34:35], v39, s[0:1] offset:2048
	v_fmac_f32_e32 v5, v36, v9
	v_add_f32_e32 v9, v53, v56
	v_add_f32_e32 v39, v9, v57
	s_waitcnt vmcnt(6)
	v_mul_f32_e32 v9, v25, v27
	v_fma_f32 v40, v26, v24, -v9
	v_add_f32_e32 v9, v52, v18
	v_mul_f32_e32 v18, v24, v27
	v_add_f32_e32 v8, v9, v8
	v_fmac_f32_e32 v18, v26, v25
	v_mul_f32_e32 v9, v8, v18
	v_mul_f32_e32 v18, v39, v18
	v_fma_f32 v8, v8, v40, -v18
	ds_read_b64 v[36:37], v47
	v_fmac_f32_e32 v9, v39, v40
	s_waitcnt vmcnt(5)
	v_mul_f32_e32 v18, v49, v11
	v_fma_f32 v47, v48, v10, -v18
	v_mul_f32_e32 v18, v7, v51
	v_fma_f32 v58, v6, v50, -v18
	v_bfe_u32 v18, v38, 16, 8
	v_lshl_or_b32 v18, v18, 3, v17
	global_load_dwordx2 v[38:39], v18, s[0:1]
	v_mul_f32_e32 v60, v49, v10
	v_mul_lo_u32 v10, v16, v54
	v_fmac_f32_e32 v60, v48, v11
	v_bfe_u32 v11, v10, 16, 8
	v_lshl_or_b32 v11, v11, 3, v17
	v_lshlrev_b32_sdwa v18, v44, v10 dst_sel:DWORD dst_unused:UNUSED_PAD src0_sel:DWORD src1_sel:BYTE_0
	v_lshlrev_b32_sdwa v10, v44, v10 dst_sel:DWORD dst_unused:UNUSED_PAD src0_sel:DWORD src1_sel:BYTE_1
	global_load_dwordx2 v[40:41], v11, s[0:1]
	global_load_dwordx2 v[48:49], v18, s[0:1]
	global_load_dwordx2 v[52:53], v10, s[0:1] offset:2048
	v_mul_f32_e32 v61, v6, v51
	v_fmac_f32_e32 v61, v7, v50
	v_add_f32_e32 v6, v60, v61
	s_waitcnt lgkmcnt(0)
	v_fma_f32 v10, -0.5, v6, v37
	v_sub_f32_e32 v59, v47, v58
	v_fmamk_f32 v11, v59, 0x3f5db3d7, v10
	v_fmac_f32_e32 v10, 0xbf5db3d7, v59
	s_waitcnt vmcnt(7)
	v_mul_f32_e32 v6, v13, v29
	v_fma_f32 v50, v12, v28, -v6
	v_subrev_u32_e32 v6, 54, v43
	v_cndmask_b32_e32 v62, v6, v42, vcc
	v_lshlrev_b32_e32 v18, 1, v62
	v_lshl_add_u64 v[6:7], v[18:19], 3, s[12:13]
	global_load_dwordx4 v[24:27], v[6:7], off offset:528
	v_mul_f32_e32 v12, v12, v29
	v_fmac_f32_e32 v12, v13, v28
	s_waitcnt vmcnt(7)
	v_mul_f32_e32 v6, v12, v31
	v_fma_f32 v13, v30, v50, -v6
	v_add_f32_e32 v6, v47, v58
	v_mul_f32_e32 v29, v50, v31
	v_fma_f32 v18, -0.5, v6, v36
	v_sub_f32_e32 v28, v60, v61
	v_fmac_f32_e32 v29, v30, v12
	v_add_u32_e32 v30, 0x90, v62
	v_fmamk_f32 v6, v28, 0xbf5db3d7, v18
	v_mul_f32_e32 v12, v11, v29
	v_mul_lo_u32 v30, v16, v30
	v_mul_f32_e32 v7, v6, v29
	v_fma_f32 v6, v6, v13, -v12
	s_waitcnt vmcnt(5)
	v_mul_f32_e32 v12, v33, v35
	v_lshlrev_b32_sdwa v31, v44, v30 dst_sel:DWORD dst_unused:UNUSED_PAD src0_sel:DWORD src1_sel:BYTE_0
	v_fma_f32 v12, v32, v34, -v12
	v_mul_f32_e32 v29, v32, v35
	v_lshlrev_b32_sdwa v32, v44, v30 dst_sel:DWORD dst_unused:UNUSED_PAD src0_sel:DWORD src1_sel:BYTE_1
	global_load_dwordx2 v[50:51], v31, s[0:1]
	global_load_dwordx2 v[54:55], v32, s[0:1] offset:2048
	v_bfe_u32 v30, v30, 16, 8
	v_lshl_or_b32 v30, v30, 3, v17
	global_load_dwordx2 v[56:57], v30, s[0:1]
	v_fmac_f32_e32 v29, v33, v34
	v_fmac_f32_e32 v7, v11, v13
	;; [unrolled: 1-line block ×3, first 2 shown]
	ds_read2_b64 v[32:35], v46 offset1:252
	v_mul_lo_u32 v46, v16, v62
	v_cmp_gt_u32_e32 vcc, s2, v0
	s_waitcnt vmcnt(7)
	v_mul_f32_e32 v11, v29, v39
	v_fma_f32 v13, v38, v12, -v11
	v_mul_f32_e32 v12, v12, v39
	v_fmac_f32_e32 v12, v38, v29
	v_mul_f32_e32 v11, v18, v12
	v_fmac_f32_e32 v11, v10, v13
	v_mul_f32_e32 v10, v10, v12
	v_fma_f32 v10, v18, v13, -v10
	v_add_f32_e32 v12, v37, v60
	s_waitcnt vmcnt(4)
	v_mul_f32_e32 v18, v48, v53
	v_mul_f32_e32 v13, v49, v53
	v_fmac_f32_e32 v18, v49, v52
	v_fma_f32 v13, v48, v52, -v13
	v_mul_f32_e32 v28, v18, v41
	v_fma_f32 v37, v40, v13, -v28
	v_add_f32_e32 v28, v36, v47
	v_add_f32_e32 v36, v28, v58
	ds_read2_b64 v[28:31], v45 offset1:252
	v_mul_f32_e32 v38, v13, v41
	v_fmac_f32_e32 v38, v40, v18
	v_add_f32_e32 v12, v12, v61
	v_mul_f32_e32 v13, v36, v38
	v_fmac_f32_e32 v13, v12, v37
	v_mul_f32_e32 v12, v12, v38
	v_fma_f32 v12, v36, v37, -v12
	s_waitcnt vmcnt(3) lgkmcnt(0)
	v_mul_f32_e32 v18, v25, v31
	v_fma_f32 v45, v24, v30, -v18
	v_mul_f32_e32 v18, v27, v35
	v_fma_f32 v52, v26, v34, -v18
	v_add_u32_e32 v18, 0x48, v62
	v_mul_lo_u32 v18, v16, v18
	v_lshlrev_b32_sdwa v40, v44, v18 dst_sel:DWORD dst_unused:UNUSED_PAD src0_sel:DWORD src1_sel:BYTE_0
	v_lshlrev_b32_sdwa v41, v44, v18 dst_sel:DWORD dst_unused:UNUSED_PAD src0_sel:DWORD src1_sel:BYTE_1
	global_load_dwordx2 v[36:37], v40, s[0:1]
	global_load_dwordx2 v[38:39], v41, s[0:1] offset:2048
	v_bfe_u32 v18, v18, 16, 8
	v_lshl_or_b32 v18, v18, 3, v17
	global_load_dwordx2 v[40:41], v18, s[0:1]
	v_mul_f32_e32 v53, v25, v30
	v_fmac_f32_e32 v53, v24, v31
	v_mul_f32_e32 v58, v27, v34
	v_fmac_f32_e32 v58, v26, v35
	v_lshlrev_b32_sdwa v30, v44, v46 dst_sel:DWORD dst_unused:UNUSED_PAD src0_sel:DWORD src1_sel:BYTE_1
	global_load_dwordx2 v[30:31], v30, s[0:1] offset:2048
	v_add_f32_e32 v18, v53, v58
	v_sub_f32_e32 v48, v45, v52
	v_fma_f32 v49, -0.5, v18, v23
	s_waitcnt vmcnt(5)
	v_mul_f32_e32 v25, v50, v55
	v_mul_f32_e32 v24, v51, v55
	v_fmac_f32_e32 v25, v51, v54
	v_fma_f32 v24, v50, v54, -v24
	s_waitcnt vmcnt(4)
	v_mul_f32_e32 v26, v25, v57
	v_fma_f32 v34, v56, v24, -v26
	v_add_f32_e32 v26, v45, v52
	v_fma_f32 v50, -0.5, v26, v22
	v_sub_f32_e32 v35, v53, v58
	v_mul_f32_e32 v24, v24, v57
	v_fmamk_f32 v18, v48, 0x3f5db3d7, v49
	v_fmamk_f32 v26, v35, 0xbf5db3d7, v50
	v_fmac_f32_e32 v24, v56, v25
	v_mul_f32_e32 v25, v26, v24
	v_mul_f32_e32 v24, v18, v24
	v_fma_f32 v24, v26, v34, -v24
	v_lshlrev_b32_sdwa v26, v44, v46 dst_sel:DWORD dst_unused:UNUSED_PAD src0_sel:DWORD src1_sel:BYTE_0
	global_load_dwordx2 v[26:27], v26, s[0:1]
	v_fmac_f32_e32 v25, v18, v34
	v_bfe_u32 v18, v46, 16, 8
	v_lshl_or_b32 v18, v18, 3, v17
	global_load_dwordx2 v[46:47], v18, s[0:1]
	v_fmac_f32_e32 v49, 0xbf5db3d7, v48
	v_fmac_f32_e32 v50, 0x3f5db3d7, v35
	v_add_f32_e32 v23, v23, v53
	s_waitcnt vmcnt(4)
	v_mul_f32_e32 v18, v37, v39
	v_mul_f32_e32 v39, v36, v39
	v_fmac_f32_e32 v39, v37, v38
	v_fma_f32 v48, v36, v38, -v18
	s_waitcnt vmcnt(3)
	v_mul_f32_e32 v18, v39, v41
	v_fma_f32 v38, v40, v48, -v18
	v_add_u32_e32 v18, 0xffffffb8, v43
	v_cndmask_b32_e32 v43, v18, v43, vcc
	v_lshlrev_b32_e32 v18, 1, v43
	v_lshl_add_u64 v[18:19], v[18:19], 3, s[12:13]
	global_load_dwordx4 v[34:37], v[18:19], off offset:528
	v_mul_f32_e32 v18, v48, v41
	v_fmac_f32_e32 v18, v40, v39
	v_mul_f32_e32 v19, v50, v18
	v_mul_f32_e32 v18, v49, v18
	v_fmac_f32_e32 v19, v49, v38
	v_fma_f32 v18, v50, v38, -v18
	v_add_u32_e32 v38, 0x90, v43
	v_mul_lo_u32 v48, v16, v38
	v_lshlrev_b32_sdwa v49, v44, v48 dst_sel:DWORD dst_unused:UNUSED_PAD src0_sel:DWORD src1_sel:BYTE_0
	v_lshlrev_b32_sdwa v50, v44, v48 dst_sel:DWORD dst_unused:UNUSED_PAD src0_sel:DWORD src1_sel:BYTE_1
	global_load_dwordx2 v[38:39], v49, s[0:1]
	global_load_dwordx2 v[40:41], v50, s[0:1] offset:2048
	v_add_f32_e32 v50, v23, v58
	v_bfe_u32 v48, v48, 16, 8
	v_lshl_or_b32 v48, v48, 3, v17
	global_load_dwordx2 v[48:49], v48, s[0:1]
	s_waitcnt vmcnt(5)
	v_mul_f32_e32 v23, v27, v31
	v_mul_f32_e32 v53, v26, v31
	v_fma_f32 v51, v26, v30, -v23
	v_fmac_f32_e32 v53, v27, v30
	v_add_f32_e32 v30, v22, v45
	v_add_u32_e32 v22, 0x48, v43
	v_mul_lo_u32 v31, v16, v22
	v_lshlrev_b32_sdwa v45, v44, v31 dst_sel:DWORD dst_unused:UNUSED_PAD src0_sel:DWORD src1_sel:BYTE_0
	v_lshlrev_b32_sdwa v55, v44, v31 dst_sel:DWORD dst_unused:UNUSED_PAD src0_sel:DWORD src1_sel:BYTE_1
	global_load_dwordx2 v[22:23], v45, s[0:1]
	global_load_dwordx2 v[26:27], v55, s[0:1] offset:2048
	v_add_f32_e32 v52, v30, v52
	v_bfe_u32 v30, v31, 16, 8
	s_waitcnt vmcnt(6)
	v_mul_f32_e32 v54, v53, v47
	v_lshl_or_b32 v30, v30, 3, v17
	v_mul_f32_e32 v47, v51, v47
	global_load_dwordx2 v[30:31], v30, s[0:1]
	v_fmac_f32_e32 v47, v46, v53
	v_mul_lo_u32 v16, v16, v43
	v_fma_f32 v54, v46, v51, -v54
	v_mul_f32_e32 v45, v52, v47
	v_lshlrev_b32_sdwa v46, v44, v16 dst_sel:DWORD dst_unused:UNUSED_PAD src0_sel:DWORD src1_sel:BYTE_0
	v_lshlrev_b32_sdwa v44, v44, v16 dst_sel:DWORD dst_unused:UNUSED_PAD src0_sel:DWORD src1_sel:BYTE_1
	v_fmac_f32_e32 v45, v50, v54
	v_mul_f32_e32 v53, v50, v47
	global_load_dwordx2 v[50:51], v44, s[0:1] offset:2048
	v_bfe_u32 v16, v16, 16, 8
	global_load_dwordx2 v[46:47], v46, s[0:1]
	v_lshl_or_b32 v16, v16, 3, v17
	global_load_dwordx2 v[16:17], v16, s[0:1]
	v_fma_f32 v44, v52, v54, -v53
	s_waitcnt vmcnt(9)
	v_mul_f32_e32 v53, v37, v33
	v_mul_f32_e32 v52, v35, v29
	v_fma_f32 v53, v36, v32, -v53
	v_mul_f32_e32 v35, v35, v28
	v_mul_f32_e32 v32, v37, v32
	v_fmac_f32_e32 v35, v34, v29
	v_fmac_f32_e32 v32, v36, v33
	v_fma_f32 v52, v34, v28, -v52
	v_add_f32_e32 v28, v35, v32
	v_sub_f32_e32 v34, v52, v53
	v_fma_f32 v33, -0.5, v28, v21
	v_fmamk_f32 v28, v34, 0x3f5db3d7, v33
	s_waitcnt vmcnt(7)
	v_mul_f32_e32 v29, v39, v41
	v_fmac_f32_e32 v33, 0xbf5db3d7, v34
	v_fma_f32 v29, v38, v40, -v29
	v_mul_f32_e32 v36, v38, v41
	v_add_f32_e32 v38, v52, v53
	v_fmac_f32_e32 v36, v39, v40
	v_fma_f32 v38, -0.5, v38, v20
	v_sub_f32_e32 v39, v35, v32
	v_fmamk_f32 v40, v39, 0xbf5db3d7, v38
	v_fmac_f32_e32 v38, 0x3f5db3d7, v39
	v_add_f32_e32 v21, v21, v35
	v_add_f32_e32 v20, v20, v52
	;; [unrolled: 1-line block ×4, first 2 shown]
	s_waitcnt vmcnt(6)
	v_mul_f32_e32 v41, v29, v49
	v_mul_f32_e32 v37, v36, v49
	v_fmac_f32_e32 v41, v48, v36
	s_waitcnt vmcnt(4)
	v_mul_f32_e32 v34, v23, v27
	v_fma_f32 v34, v22, v26, -v34
	v_mul_f32_e32 v22, v22, v27
	v_fmac_f32_e32 v22, v23, v26
	v_fma_f32 v37, v48, v29, -v37
	v_mul_f32_e32 v29, v40, v41
	s_waitcnt vmcnt(3)
	v_mul_f32_e32 v27, v34, v31
	v_mul_f32_e32 v23, v22, v31
	v_fmac_f32_e32 v27, v30, v22
	v_fma_f32 v26, v30, v34, -v23
	v_mul_f32_e32 v23, v38, v27
	v_mul_f32_e32 v22, v33, v27
	v_fmac_f32_e32 v23, v33, v26
	v_fma_f32 v22, v38, v26, -v22
	v_fmac_f32_e32 v29, v28, v37
	v_mul_f32_e32 v28, v28, v41
	v_fma_f32 v28, v40, v37, -v28
	s_waitcnt vmcnt(1)
	v_mul_f32_e32 v27, v46, v51
	v_mul_f32_e32 v26, v47, v51
	v_fmac_f32_e32 v27, v47, v50
	v_fma_f32 v26, v46, v50, -v26
	s_waitcnt vmcnt(0)
	v_mul_f32_e32 v30, v27, v17
	v_fma_f32 v30, v16, v26, -v30
	v_mul_f32_e32 v26, v26, v17
	v_fmac_f32_e32 v26, v16, v27
	v_mul_f32_e32 v17, v20, v26
	v_mul_f32_e32 v16, v21, v26
	v_fmac_f32_e32 v17, v21, v30
	v_fma_f32 v16, v20, v30, -v16
	v_mad_u64_u32 v[20:21], s[0:1], s4, v14, 0
	v_mov_b32_e32 v26, v21
	v_mad_u64_u32 v[26:27], s[0:1], s5, v14, v[26:27]
	s_movk_i32 s0, 0x3ef
	v_mov_b32_e32 v14, 0xd8
	v_cmp_lt_u32_e32 vcc, s0, v0
	v_mov_b32_e32 v21, v26
	s_nop 0
	v_cndmask_b32_e32 v14, 0, v14, vcc
	v_add_u32_e32 v32, v43, v14
	v_mad_u64_u32 v[26:27], s[0:1], s8, v32, 0
	v_mov_b32_e32 v14, v27
	v_mad_u64_u32 v[30:31], s[0:1], s9, v32, v[14:15]
	s_lshl_b64 s[0:1], s[6:7], 3
	s_add_u32 s0, s10, s0
	s_addc_u32 s1, s11, s1
	v_mov_b32_e32 v27, v30
	v_lshl_add_u64 v[20:21], v[20:21], 3, s[0:1]
	v_lshl_add_u64 v[26:27], v[26:27], 3, v[20:21]
	global_store_dwordx2 v[26:27], v[16:17], off
	v_add_u32_e32 v26, 0x48, v32
	v_mad_u64_u32 v[16:17], s[0:1], s8, v26, 0
	v_mov_b32_e32 v14, v17
	v_mad_u64_u32 v[26:27], s[0:1], s9, v26, v[14:15]
	v_mov_b32_e32 v17, v26
	v_lshl_add_u64 v[16:17], v[16:17], 3, v[20:21]
	global_store_dwordx2 v[16:17], v[22:23], off
	v_add_u32_e32 v22, 0x90, v32
	v_mad_u64_u32 v[16:17], s[0:1], s8, v22, 0
	v_mov_b32_e32 v14, v17
	v_mad_u64_u32 v[22:23], s[0:1], s9, v22, v[14:15]
	s_movk_i32 s0, 0x2f3
	v_mov_b32_e32 v26, 0x90
	v_cmp_lt_u32_e32 vcc, s0, v0
	v_mov_b32_e32 v17, v22
	v_lshl_add_u64 v[16:17], v[16:17], 3, v[20:21]
	v_cndmask_b32_e32 v14, 0, v26, vcc
	v_add_u32_e32 v27, v42, v14
	global_store_dwordx2 v[16:17], v[28:29], off
	v_mad_u64_u32 v[16:17], s[0:1], s8, v27, 0
	v_mov_b32_e32 v14, v17
	v_mad_u64_u32 v[22:23], s[0:1], s9, v27, v[14:15]
	v_mov_b32_e32 v17, v22
	v_lshl_add_u64 v[16:17], v[16:17], 3, v[20:21]
	v_add_u32_e32 v22, 0x48, v27
	global_store_dwordx2 v[16:17], v[44:45], off
	v_mad_u64_u32 v[16:17], s[0:1], s8, v22, 0
	v_mov_b32_e32 v14, v17
	v_mad_u64_u32 v[22:23], s[0:1], s9, v22, v[14:15]
	v_mov_b32_e32 v17, v22
	v_lshl_add_u64 v[16:17], v[16:17], 3, v[20:21]
	global_store_dwordx2 v[16:17], v[18:19], off
	v_add_u32_e32 v18, 0x90, v27
	v_mad_u64_u32 v[16:17], s[0:1], s8, v18, 0
	v_mov_b32_e32 v14, v17
	v_mad_u64_u32 v[18:19], s[0:1], s9, v18, v[14:15]
	s_movk_i32 s0, 0x1f7
	s_nop 0
	v_cmp_lt_u32_e32 vcc, s0, v0
	v_mov_b32_e32 v17, v18
	v_lshl_add_u64 v[16:17], v[16:17], 3, v[20:21]
	v_cndmask_b32_e32 v14, 0, v26, vcc
	v_add_u32_e32 v1, v1, v14
	global_store_dwordx2 v[16:17], v[24:25], off
	v_mad_u64_u32 v[16:17], s[0:1], s8, v1, 0
	v_mov_b32_e32 v14, v17
	v_mad_u64_u32 v[18:19], s[0:1], s9, v1, v[14:15]
	v_mov_b32_e32 v17, v18
	v_lshl_add_u64 v[16:17], v[16:17], 3, v[20:21]
	global_store_dwordx2 v[16:17], v[12:13], off
	v_add_u32_e32 v16, 0x48, v1
	v_mad_u64_u32 v[12:13], s[0:1], s8, v16, 0
	v_mov_b32_e32 v14, v13
	v_mad_u64_u32 v[16:17], s[0:1], s9, v16, v[14:15]
	v_mov_b32_e32 v13, v16
	v_lshl_add_u64 v[12:13], v[12:13], 3, v[20:21]
	v_add_u32_e32 v1, 0x90, v1
	global_store_dwordx2 v[12:13], v[10:11], off
	v_mad_u64_u32 v[10:11], s[0:1], s8, v1, 0
	v_mov_b32_e32 v12, v11
	v_mad_u64_u32 v[12:13], s[0:1], s9, v1, v[12:13]
	s_movk_i32 s0, 0xfb
	v_mov_b32_e32 v11, v12
	v_cmp_lt_u32_e32 vcc, s0, v0
	v_lshl_add_u64 v[10:11], v[10:11], 3, v[20:21]
	global_store_dwordx2 v[10:11], v[6:7], off
	v_cndmask_b32_e32 v0, 0, v26, vcc
	v_add_u32_e32 v10, v15, v0
	v_mad_u64_u32 v[0:1], s[0:1], s8, v10, 0
	v_mov_b32_e32 v6, v1
	v_mad_u64_u32 v[6:7], s[0:1], s9, v10, v[6:7]
	v_mov_b32_e32 v1, v6
	v_lshl_add_u64 v[0:1], v[0:1], 3, v[20:21]
	v_add_u32_e32 v7, 0x48, v10
	global_store_dwordx2 v[0:1], v[8:9], off
	v_mad_u64_u32 v[0:1], s[0:1], s8, v7, 0
	v_mov_b32_e32 v6, v1
	v_mad_u64_u32 v[6:7], s[0:1], s9, v7, v[6:7]
	v_mov_b32_e32 v1, v6
	v_lshl_add_u64 v[0:1], v[0:1], 3, v[20:21]
	global_store_dwordx2 v[0:1], v[4:5], off
	v_add_u32_e32 v5, 0x90, v10
	v_mad_u64_u32 v[0:1], s[0:1], s8, v5, 0
	v_mov_b32_e32 v4, v1
	v_mad_u64_u32 v[4:5], s[0:1], s9, v5, v[4:5]
	v_mov_b32_e32 v1, v4
	v_lshl_add_u64 v[0:1], v[0:1], 3, v[20:21]
	global_store_dwordx2 v[0:1], v[2:3], off
.LBB0_12:
	s_endpgm
	.section	.rodata,"a",@progbits
	.p2align	6, 0x0
	.amdhsa_kernel fft_rtc_fwd_len216_factors_6_4_3_3_wgs_252_tpt_18_dim2_sp_ip_CI_sbcc_twdbase8_3step_dirReg
		.amdhsa_group_segment_fixed_size 0
		.amdhsa_private_segment_fixed_size 0
		.amdhsa_kernarg_size 88
		.amdhsa_user_sgpr_count 2
		.amdhsa_user_sgpr_dispatch_ptr 0
		.amdhsa_user_sgpr_queue_ptr 0
		.amdhsa_user_sgpr_kernarg_segment_ptr 1
		.amdhsa_user_sgpr_dispatch_id 0
		.amdhsa_user_sgpr_kernarg_preload_length 0
		.amdhsa_user_sgpr_kernarg_preload_offset 0
		.amdhsa_user_sgpr_private_segment_size 0
		.amdhsa_uses_dynamic_stack 0
		.amdhsa_enable_private_segment 0
		.amdhsa_system_sgpr_workgroup_id_x 1
		.amdhsa_system_sgpr_workgroup_id_y 0
		.amdhsa_system_sgpr_workgroup_id_z 0
		.amdhsa_system_sgpr_workgroup_info 0
		.amdhsa_system_vgpr_workitem_id 0
		.amdhsa_next_free_vgpr 68
		.amdhsa_next_free_sgpr 24
		.amdhsa_accum_offset 68
		.amdhsa_reserve_vcc 1
		.amdhsa_float_round_mode_32 0
		.amdhsa_float_round_mode_16_64 0
		.amdhsa_float_denorm_mode_32 3
		.amdhsa_float_denorm_mode_16_64 3
		.amdhsa_dx10_clamp 1
		.amdhsa_ieee_mode 1
		.amdhsa_fp16_overflow 0
		.amdhsa_tg_split 0
		.amdhsa_exception_fp_ieee_invalid_op 0
		.amdhsa_exception_fp_denorm_src 0
		.amdhsa_exception_fp_ieee_div_zero 0
		.amdhsa_exception_fp_ieee_overflow 0
		.amdhsa_exception_fp_ieee_underflow 0
		.amdhsa_exception_fp_ieee_inexact 0
		.amdhsa_exception_int_div_zero 0
	.end_amdhsa_kernel
	.text
.Lfunc_end0:
	.size	fft_rtc_fwd_len216_factors_6_4_3_3_wgs_252_tpt_18_dim2_sp_ip_CI_sbcc_twdbase8_3step_dirReg, .Lfunc_end0-fft_rtc_fwd_len216_factors_6_4_3_3_wgs_252_tpt_18_dim2_sp_ip_CI_sbcc_twdbase8_3step_dirReg
                                        ; -- End function
	.section	.AMDGPU.csdata,"",@progbits
; Kernel info:
; codeLenInByte = 7568
; NumSgprs: 30
; NumVgprs: 68
; NumAgprs: 0
; TotalNumVgprs: 68
; ScratchSize: 0
; MemoryBound: 0
; FloatMode: 240
; IeeeMode: 1
; LDSByteSize: 0 bytes/workgroup (compile time only)
; SGPRBlocks: 3
; VGPRBlocks: 8
; NumSGPRsForWavesPerEU: 30
; NumVGPRsForWavesPerEU: 68
; AccumOffset: 68
; Occupancy: 7
; WaveLimiterHint : 1
; COMPUTE_PGM_RSRC2:SCRATCH_EN: 0
; COMPUTE_PGM_RSRC2:USER_SGPR: 2
; COMPUTE_PGM_RSRC2:TRAP_HANDLER: 0
; COMPUTE_PGM_RSRC2:TGID_X_EN: 1
; COMPUTE_PGM_RSRC2:TGID_Y_EN: 0
; COMPUTE_PGM_RSRC2:TGID_Z_EN: 0
; COMPUTE_PGM_RSRC2:TIDIG_COMP_CNT: 0
; COMPUTE_PGM_RSRC3_GFX90A:ACCUM_OFFSET: 16
; COMPUTE_PGM_RSRC3_GFX90A:TG_SPLIT: 0
	.text
	.p2alignl 6, 3212836864
	.fill 256, 4, 3212836864
	.type	__hip_cuid_ba1cdf51a66ec35e,@object ; @__hip_cuid_ba1cdf51a66ec35e
	.section	.bss,"aw",@nobits
	.globl	__hip_cuid_ba1cdf51a66ec35e
__hip_cuid_ba1cdf51a66ec35e:
	.byte	0                               ; 0x0
	.size	__hip_cuid_ba1cdf51a66ec35e, 1

	.ident	"AMD clang version 19.0.0git (https://github.com/RadeonOpenCompute/llvm-project roc-6.4.0 25133 c7fe45cf4b819c5991fe208aaa96edf142730f1d)"
	.section	".note.GNU-stack","",@progbits
	.addrsig
	.addrsig_sym __hip_cuid_ba1cdf51a66ec35e
	.amdgpu_metadata
---
amdhsa.kernels:
  - .agpr_count:     0
    .args:
      - .actual_access:  read_only
        .address_space:  global
        .offset:         0
        .size:           8
        .value_kind:     global_buffer
      - .address_space:  global
        .offset:         8
        .size:           8
        .value_kind:     global_buffer
      - .actual_access:  read_only
        .address_space:  global
        .offset:         16
        .size:           8
        .value_kind:     global_buffer
      - .actual_access:  read_only
        .address_space:  global
        .offset:         24
        .size:           8
        .value_kind:     global_buffer
      - .offset:         32
        .size:           8
        .value_kind:     by_value
      - .actual_access:  read_only
        .address_space:  global
        .offset:         40
        .size:           8
        .value_kind:     global_buffer
      - .actual_access:  read_only
        .address_space:  global
        .offset:         48
        .size:           8
        .value_kind:     global_buffer
      - .offset:         56
        .size:           4
        .value_kind:     by_value
      - .actual_access:  read_only
        .address_space:  global
        .offset:         64
        .size:           8
        .value_kind:     global_buffer
      - .actual_access:  read_only
        .address_space:  global
        .offset:         72
        .size:           8
        .value_kind:     global_buffer
      - .address_space:  global
        .offset:         80
        .size:           8
        .value_kind:     global_buffer
    .group_segment_fixed_size: 0
    .kernarg_segment_align: 8
    .kernarg_segment_size: 88
    .language:       OpenCL C
    .language_version:
      - 2
      - 0
    .max_flat_workgroup_size: 252
    .name:           fft_rtc_fwd_len216_factors_6_4_3_3_wgs_252_tpt_18_dim2_sp_ip_CI_sbcc_twdbase8_3step_dirReg
    .private_segment_fixed_size: 0
    .sgpr_count:     30
    .sgpr_spill_count: 0
    .symbol:         fft_rtc_fwd_len216_factors_6_4_3_3_wgs_252_tpt_18_dim2_sp_ip_CI_sbcc_twdbase8_3step_dirReg.kd
    .uniform_work_group_size: 1
    .uses_dynamic_stack: false
    .vgpr_count:     68
    .vgpr_spill_count: 0
    .wavefront_size: 64
amdhsa.target:   amdgcn-amd-amdhsa--gfx950
amdhsa.version:
  - 1
  - 2
...

	.end_amdgpu_metadata
